;; amdgpu-corpus repo=ROCm/rocFFT kind=compiled arch=gfx950 opt=O3
	.text
	.amdgcn_target "amdgcn-amd-amdhsa--gfx950"
	.amdhsa_code_object_version 6
	.protected	fft_rtc_back_len270_factors_10_3_3_3_wgs_108_tpt_27_halfLds_sp_ip_CI_unitstride_sbrr_C2R_dirReg ; -- Begin function fft_rtc_back_len270_factors_10_3_3_3_wgs_108_tpt_27_halfLds_sp_ip_CI_unitstride_sbrr_C2R_dirReg
	.globl	fft_rtc_back_len270_factors_10_3_3_3_wgs_108_tpt_27_halfLds_sp_ip_CI_unitstride_sbrr_C2R_dirReg
	.p2align	8
	.type	fft_rtc_back_len270_factors_10_3_3_3_wgs_108_tpt_27_halfLds_sp_ip_CI_unitstride_sbrr_C2R_dirReg,@function
fft_rtc_back_len270_factors_10_3_3_3_wgs_108_tpt_27_halfLds_sp_ip_CI_unitstride_sbrr_C2R_dirReg: ; @fft_rtc_back_len270_factors_10_3_3_3_wgs_108_tpt_27_halfLds_sp_ip_CI_unitstride_sbrr_C2R_dirReg
; %bb.0:
	s_load_dwordx2 s[8:9], s[0:1], 0x50
	s_load_dwordx4 s[4:7], s[0:1], 0x0
	s_load_dwordx2 s[10:11], s[0:1], 0x18
	v_mul_u32_u24_e32 v1, 0x97c, v0
	v_lshrrev_b32_e32 v1, 16, v1
	v_lshl_add_u32 v6, s2, 2, v1
	v_mov_b32_e32 v4, 0
	s_waitcnt lgkmcnt(0)
	v_cmp_lt_u64_e64 s[2:3], s[6:7], 2
	v_mov_b32_e32 v7, v4
	s_and_b64 vcc, exec, s[2:3]
	v_mov_b64_e32 v[2:3], 0
	s_cbranch_vccnz .LBB0_8
; %bb.1:
	s_load_dwordx2 s[2:3], s[0:1], 0x10
	s_add_u32 s12, s10, 8
	s_addc_u32 s13, s11, 0
	s_mov_b64 s[14:15], 1
	v_mov_b64_e32 v[2:3], 0
	s_waitcnt lgkmcnt(0)
	s_add_u32 s16, s2, 8
	s_addc_u32 s17, s3, 0
.LBB0_2:                                ; =>This Inner Loop Header: Depth=1
	s_load_dwordx2 s[18:19], s[16:17], 0x0
                                        ; implicit-def: $vgpr8_vgpr9
	s_waitcnt lgkmcnt(0)
	v_or_b32_e32 v5, s19, v7
	v_cmp_ne_u64_e32 vcc, 0, v[4:5]
	s_and_saveexec_b64 s[2:3], vcc
	s_xor_b64 s[20:21], exec, s[2:3]
	s_cbranch_execz .LBB0_4
; %bb.3:                                ;   in Loop: Header=BB0_2 Depth=1
	v_cvt_f32_u32_e32 v5, s18
	v_cvt_f32_u32_e32 v8, s19
	s_sub_u32 s2, 0, s18
	s_subb_u32 s3, 0, s19
	v_fmac_f32_e32 v5, 0x4f800000, v8
	v_rcp_f32_e32 v5, v5
	s_nop 0
	v_mul_f32_e32 v5, 0x5f7ffffc, v5
	v_mul_f32_e32 v8, 0x2f800000, v5
	v_trunc_f32_e32 v8, v8
	v_fmac_f32_e32 v5, 0xcf800000, v8
	v_cvt_u32_f32_e32 v12, v8
	v_cvt_u32_f32_e32 v5, v5
	v_mul_lo_u32 v8, s2, v12
	v_mul_hi_u32 v10, s2, v5
	v_mul_lo_u32 v9, s3, v5
	v_add_u32_e32 v10, v10, v8
	v_mul_lo_u32 v13, s2, v5
	v_add_u32_e32 v14, v10, v9
	v_mul_hi_u32 v8, v5, v13
	v_mul_hi_u32 v11, v5, v14
	v_mul_lo_u32 v10, v5, v14
	v_mov_b32_e32 v9, v4
	v_lshl_add_u64 v[8:9], v[8:9], 0, v[10:11]
	v_mul_hi_u32 v11, v12, v13
	v_mul_lo_u32 v13, v12, v13
	v_add_co_u32_e32 v8, vcc, v8, v13
	v_mul_hi_u32 v10, v12, v14
	s_nop 0
	v_addc_co_u32_e32 v8, vcc, v9, v11, vcc
	v_mov_b32_e32 v9, v4
	s_nop 0
	v_addc_co_u32_e32 v11, vcc, 0, v10, vcc
	v_mul_lo_u32 v10, v12, v14
	v_lshl_add_u64 v[8:9], v[8:9], 0, v[10:11]
	v_add_co_u32_e32 v5, vcc, v5, v8
	v_mul_lo_u32 v10, s2, v5
	s_nop 0
	v_addc_co_u32_e32 v12, vcc, v12, v9, vcc
	v_mul_lo_u32 v8, s2, v12
	v_mul_hi_u32 v9, s2, v5
	v_add_u32_e32 v8, v9, v8
	v_mul_lo_u32 v9, s3, v5
	v_add_u32_e32 v13, v8, v9
	v_mul_hi_u32 v15, v12, v10
	v_mul_lo_u32 v16, v12, v10
	v_mul_hi_u32 v9, v5, v13
	v_mul_lo_u32 v8, v5, v13
	v_mul_hi_u32 v10, v5, v10
	v_mov_b32_e32 v11, v4
	v_lshl_add_u64 v[8:9], v[10:11], 0, v[8:9]
	v_add_co_u32_e32 v8, vcc, v8, v16
	v_mul_hi_u32 v14, v12, v13
	s_nop 0
	v_addc_co_u32_e32 v8, vcc, v9, v15, vcc
	v_mul_lo_u32 v10, v12, v13
	s_nop 0
	v_addc_co_u32_e32 v11, vcc, 0, v14, vcc
	v_mov_b32_e32 v9, v4
	v_lshl_add_u64 v[8:9], v[8:9], 0, v[10:11]
	v_add_co_u32_e32 v5, vcc, v5, v8
	v_mul_hi_u32 v10, v6, v5
	s_nop 0
	v_addc_co_u32_e32 v12, vcc, v12, v9, vcc
	v_mad_u64_u32 v[8:9], s[2:3], v6, v12, 0
	v_mov_b32_e32 v11, v4
	v_lshl_add_u64 v[8:9], v[10:11], 0, v[8:9]
	v_mad_u64_u32 v[10:11], s[2:3], v7, v12, 0
	v_mad_u64_u32 v[12:13], s[2:3], v7, v5, 0
	v_add_co_u32_e32 v5, vcc, v8, v12
	s_nop 1
	v_addc_co_u32_e32 v8, vcc, v9, v13, vcc
	v_mov_b32_e32 v9, v4
	s_nop 0
	v_addc_co_u32_e32 v11, vcc, 0, v11, vcc
	v_lshl_add_u64 v[8:9], v[8:9], 0, v[10:11]
	v_mul_lo_u32 v5, s19, v8
	v_mul_lo_u32 v12, s18, v9
	v_mad_u64_u32 v[10:11], s[2:3], s18, v8, 0
	v_add3_u32 v5, v11, v12, v5
	v_sub_u32_e32 v11, v7, v5
	v_mov_b32_e32 v12, s19
	v_sub_co_u32_e32 v14, vcc, v6, v10
	s_nop 1
	v_subb_co_u32_e64 v10, s[2:3], v11, v12, vcc
	v_subrev_co_u32_e64 v11, s[2:3], s18, v14
	v_subb_co_u32_e32 v5, vcc, v7, v5, vcc
	s_nop 0
	v_subbrev_co_u32_e64 v10, s[2:3], 0, v10, s[2:3]
	v_cmp_le_u32_e64 s[2:3], s19, v10
	v_cmp_le_u32_e32 vcc, s19, v5
	s_nop 0
	v_cndmask_b32_e64 v12, 0, -1, s[2:3]
	v_cmp_le_u32_e64 s[2:3], s18, v11
	s_nop 1
	v_cndmask_b32_e64 v11, 0, -1, s[2:3]
	v_cmp_eq_u32_e64 s[2:3], s19, v10
	s_nop 1
	v_cndmask_b32_e64 v15, v12, v11, s[2:3]
	v_lshl_add_u64 v[10:11], v[8:9], 0, 2
	v_lshl_add_u64 v[12:13], v[8:9], 0, 1
	v_cmp_ne_u32_e64 s[2:3], 0, v15
	s_nop 1
	v_cndmask_b32_e64 v11, v13, v11, s[2:3]
	v_cndmask_b32_e64 v13, 0, -1, vcc
	v_cmp_le_u32_e32 vcc, s18, v14
	s_nop 1
	v_cndmask_b32_e64 v14, 0, -1, vcc
	v_cmp_eq_u32_e32 vcc, s19, v5
	s_nop 1
	v_cndmask_b32_e32 v5, v13, v14, vcc
	v_cmp_ne_u32_e32 vcc, 0, v5
	v_cndmask_b32_e64 v5, v12, v10, s[2:3]
	s_nop 0
	v_cndmask_b32_e32 v9, v9, v11, vcc
	v_cndmask_b32_e32 v8, v8, v5, vcc
.LBB0_4:                                ;   in Loop: Header=BB0_2 Depth=1
	s_andn2_saveexec_b64 s[2:3], s[20:21]
	s_cbranch_execz .LBB0_6
; %bb.5:                                ;   in Loop: Header=BB0_2 Depth=1
	v_cvt_f32_u32_e32 v5, s18
	s_sub_i32 s20, 0, s18
	v_rcp_iflag_f32_e32 v5, v5
	s_nop 0
	v_mul_f32_e32 v5, 0x4f7ffffe, v5
	v_cvt_u32_f32_e32 v5, v5
	v_mul_lo_u32 v8, s20, v5
	v_mul_hi_u32 v8, v5, v8
	v_add_u32_e32 v5, v5, v8
	v_mul_hi_u32 v5, v6, v5
	v_mul_lo_u32 v8, v5, s18
	v_sub_u32_e32 v8, v6, v8
	v_add_u32_e32 v9, 1, v5
	v_subrev_u32_e32 v10, s18, v8
	v_cmp_le_u32_e32 vcc, s18, v8
	s_nop 1
	v_cndmask_b32_e32 v8, v8, v10, vcc
	v_cndmask_b32_e32 v5, v5, v9, vcc
	v_add_u32_e32 v9, 1, v5
	v_cmp_le_u32_e32 vcc, s18, v8
	s_nop 1
	v_cndmask_b32_e32 v8, v5, v9, vcc
	v_mov_b32_e32 v9, v4
.LBB0_6:                                ;   in Loop: Header=BB0_2 Depth=1
	s_or_b64 exec, exec, s[2:3]
	v_mad_u64_u32 v[10:11], s[2:3], v8, s18, 0
	s_load_dwordx2 s[2:3], s[12:13], 0x0
	v_mul_lo_u32 v5, v9, s18
	v_mul_lo_u32 v12, v8, s19
	v_add3_u32 v5, v11, v12, v5
	v_sub_co_u32_e32 v6, vcc, v6, v10
	s_add_u32 s14, s14, 1
	s_nop 0
	v_subb_co_u32_e32 v5, vcc, v7, v5, vcc
	s_addc_u32 s15, s15, 0
	s_waitcnt lgkmcnt(0)
	v_mul_lo_u32 v5, s2, v5
	v_mul_lo_u32 v7, s3, v6
	v_mad_u64_u32 v[2:3], s[2:3], s2, v6, v[2:3]
	s_add_u32 s12, s12, 8
	v_add3_u32 v3, v7, v3, v5
	s_addc_u32 s13, s13, 0
	v_mov_b64_e32 v[6:7], s[6:7]
	s_add_u32 s16, s16, 8
	v_cmp_ge_u64_e32 vcc, s[14:15], v[6:7]
	s_addc_u32 s17, s17, 0
	s_cbranch_vccnz .LBB0_9
; %bb.7:                                ;   in Loop: Header=BB0_2 Depth=1
	v_mov_b64_e32 v[6:7], v[8:9]
	s_branch .LBB0_2
.LBB0_8:
	v_mov_b64_e32 v[8:9], v[6:7]
.LBB0_9:
	s_lshl_b64 s[2:3], s[6:7], 3
	s_add_u32 s2, s10, s2
	s_addc_u32 s3, s11, s3
	s_load_dwordx2 s[6:7], s[2:3], 0x0
	s_load_dwordx2 s[10:11], s[0:1], 0x20
	v_and_b32_e32 v1, 3, v1
	v_mul_u32_u24_e32 v1, 0x10f, v1
	v_lshlrev_b32_e32 v35, 3, v1
	s_waitcnt lgkmcnt(0)
	v_mad_u64_u32 v[2:3], s[0:1], s6, v8, v[2:3]
	v_mul_lo_u32 v4, s6, v9
	v_mul_lo_u32 v5, s7, v8
	s_mov_b32 s0, 0x97b425f
	v_add3_u32 v3, v5, v3, v4
	v_mul_hi_u32 v4, v0, s0
	v_mul_u32_u24_e32 v4, 27, v4
	v_cmp_gt_u64_e32 vcc, s[10:11], v[8:9]
	v_sub_u32_e32 v24, v0, v4
	v_lshl_add_u64 v[22:23], v[2:3], 3, s[8:9]
	s_and_saveexec_b64 s[2:3], vcc
	s_cbranch_execz .LBB0_13
; %bb.10:
	v_mov_b32_e32 v25, 0
	v_lshl_add_u64 v[2:3], v[24:25], 3, v[22:23]
	global_load_dwordx2 v[4:5], v[2:3], off
	global_load_dwordx2 v[6:7], v[2:3], off offset:216
	global_load_dwordx2 v[8:9], v[2:3], off offset:432
	;; [unrolled: 1-line block ×9, first 2 shown]
	v_lshlrev_b32_e32 v0, 3, v24
	v_add3_u32 v0, 0, v35, v0
	v_cmp_eq_u32_e64 s[0:1], 26, v24
	s_waitcnt vmcnt(8)
	ds_write2_b64 v0, v[4:5], v[6:7] offset1:27
	s_waitcnt vmcnt(6)
	ds_write2_b64 v0, v[8:9], v[10:11] offset0:54 offset1:81
	s_waitcnt vmcnt(4)
	ds_write2_b64 v0, v[12:13], v[14:15] offset0:108 offset1:135
	;; [unrolled: 2-line block ×4, first 2 shown]
	s_and_saveexec_b64 s[6:7], s[0:1]
	s_cbranch_execz .LBB0_12
; %bb.11:
	global_load_dwordx2 v[2:3], v[22:23], off offset:2160
	v_mov_b32_e32 v24, 26
	s_waitcnt vmcnt(0)
	ds_write_b64 v0, v[2:3] offset:1952
.LBB0_12:
	s_or_b64 exec, exec, s[6:7]
.LBB0_13:
	s_or_b64 exec, exec, s[2:3]
	v_lshl_add_u32 v34, v1, 3, 0
	v_lshlrev_b32_e32 v0, 3, v24
	v_add_u32_e32 v36, v34, v0
	s_waitcnt lgkmcnt(0)
	s_barrier
	v_sub_u32_e32 v4, v34, v0
	ds_read_b32 v1, v36
	ds_read_b32 v2, v4 offset:2160
	v_cmp_ne_u32_e64 s[0:1], 0, v24
	s_waitcnt lgkmcnt(0)
	v_add_f32_e32 v0, v2, v1
	v_sub_f32_e32 v1, v1, v2
                                        ; implicit-def: $vgpr2_vgpr3
	s_and_saveexec_b64 s[2:3], s[0:1]
	s_xor_b64 s[0:1], exec, s[2:3]
	s_cbranch_execz .LBB0_15
; %bb.14:
	v_mov_b32_e32 v25, 0
	v_lshl_add_u64 v[2:3], v[24:25], 3, s[4:5]
	global_load_dwordx2 v[2:3], v[2:3], off offset:2080
	ds_read_b32 v5, v4 offset:2164
	ds_read_b32 v9, v36 offset:4
	v_mov_b32_e32 v8, v1
	v_mov_b32_e32 v7, v1
	s_waitcnt lgkmcnt(0)
	v_add_f32_e32 v6, v5, v9
	v_sub_f32_e32 v5, v9, v5
	v_mov_b32_e32 v9, v6
	v_mov_b32_e32 v1, v5
	s_waitcnt vmcnt(0)
	v_pk_mul_f32 v[10:11], v[8:9], v[2:3] op_sel:[0,1]
	v_pk_fma_f32 v[8:9], v[8:9], v[2:3], v[0:1] op_sel:[0,1,0]
	v_mov_b32_e32 v1, v11
	v_mov_b32_e32 v11, v5
	v_pk_fma_f32 v[12:13], v[2:3], v[6:7], v[8:9] neg_lo:[1,0,0] neg_hi:[1,0,0]
	v_pk_fma_f32 v[8:9], v[2:3], v[6:7], v[8:9] op_sel_hi:[0,1,1]
	v_pk_add_f32 v[0:1], v[0:1], v[10:11] neg_lo:[0,1] neg_hi:[0,1]
	v_mov_b32_e32 v13, v9
	v_pk_fma_f32 v[0:1], v[2:3], v[6:7], v[0:1] op_sel_hi:[0,1,1]
	ds_write_b64 v36, v[12:13]
	ds_write_b64 v4, v[0:1] offset:2160
	v_mov_b64_e32 v[2:3], v[24:25]
                                        ; implicit-def: $vgpr0
.LBB0_15:
	s_andn2_saveexec_b64 s[0:1], s[0:1]
	s_cbranch_execz .LBB0_17
; %bb.16:
	ds_write_b64 v36, v[0:1]
	ds_read_b64 v[0:1], v34 offset:1080
	s_mov_b32 s2, 2.0
	s_mov_b32 s3, -2.0
	v_mov_b64_e32 v[2:3], 0
	s_waitcnt lgkmcnt(0)
	v_pk_mul_f32 v[0:1], v[0:1], s[2:3]
	ds_write_b64 v34, v[0:1] offset:1080
.LBB0_17:
	s_or_b64 exec, exec, s[0:1]
	s_add_u32 s0, s4, 0x820
	s_addc_u32 s1, s5, 0
	v_lshl_add_u64 v[0:1], v[2:3], 3, s[0:1]
	global_load_dwordx2 v[2:3], v[0:1], off offset:216
	global_load_dwordx2 v[6:7], v[0:1], off offset:432
	;; [unrolled: 1-line block ×4, first 2 shown]
	ds_read_b64 v[0:1], v4 offset:1944
	ds_read_b64 v[12:13], v36 offset:216
	v_lshl_add_u32 v5, v24, 3, 0
	s_movk_i32 s1, 0x48
	v_add_u32_e32 v25, v5, v35
	v_mad_u32_u24 v37, v24, s1, v5
	s_waitcnt lgkmcnt(0)
	v_pk_add_f32 v[14:15], v[12:13], v[0:1]
	v_pk_add_f32 v[0:1], v[12:13], v[0:1] neg_lo:[0,1] neg_hi:[0,1]
	v_mov_b32_e32 v12, v15
	v_mov_b32_e32 v13, v0
	;; [unrolled: 1-line block ×3, first 2 shown]
	s_mov_b32 s0, 0x3f737871
	s_mov_b32 s2, 0x3f167918
	;; [unrolled: 1-line block ×5, first 2 shown]
	v_add_u32_e32 v54, v37, v35
	s_waitcnt vmcnt(3)
	v_pk_mul_f32 v[16:17], v[12:13], v[2:3] op_sel:[0,1]
	s_nop 0
	v_pk_add_f32 v[18:19], v[14:15], v[16:17] op_sel:[0,1] op_sel_hi:[1,0]
	v_mov_b32_e32 v15, v16
	v_mov_b32_e32 v0, v17
	v_pk_fma_f32 v[16:17], v[2:3], v[12:13], v[18:19] neg_lo:[1,0,0] neg_hi:[1,0,0]
	v_pk_fma_f32 v[18:19], v[2:3], v[12:13], v[18:19] op_sel_hi:[0,1,1]
	v_pk_add_f32 v[0:1], v[14:15], v[0:1] neg_lo:[0,1] neg_hi:[0,1]
	v_mov_b32_e32 v17, v19
	v_pk_fma_f32 v[0:1], v[2:3], v[12:13], v[0:1] op_sel_hi:[0,1,1]
	ds_write_b64 v36, v[16:17] offset:216
	ds_write_b64 v4, v[0:1] offset:1944
	ds_read_b64 v[0:1], v4 offset:1728
	ds_read_b64 v[2:3], v36 offset:432
	s_waitcnt lgkmcnt(0)
	v_pk_add_f32 v[12:13], v[2:3], v[0:1]
	v_pk_add_f32 v[0:1], v[2:3], v[0:1] neg_lo:[0,1] neg_hi:[0,1]
	v_mov_b32_e32 v2, v13
	v_mov_b32_e32 v3, v0
	v_mov_b32_e32 v13, v1
	s_waitcnt vmcnt(2)
	v_pk_mul_f32 v[14:15], v[2:3], v[6:7] op_sel:[0,1]
	s_nop 0
	v_pk_add_f32 v[16:17], v[12:13], v[14:15] op_sel:[0,1] op_sel_hi:[1,0]
	v_mov_b32_e32 v13, v14
	v_mov_b32_e32 v0, v15
	v_pk_fma_f32 v[14:15], v[6:7], v[2:3], v[16:17] neg_lo:[1,0,0] neg_hi:[1,0,0]
	v_pk_fma_f32 v[16:17], v[6:7], v[2:3], v[16:17] op_sel_hi:[0,1,1]
	v_pk_add_f32 v[0:1], v[12:13], v[0:1] neg_lo:[0,1] neg_hi:[0,1]
	v_mov_b32_e32 v15, v17
	v_pk_fma_f32 v[0:1], v[6:7], v[2:3], v[0:1] op_sel_hi:[0,1,1]
	ds_write_b64 v36, v[14:15] offset:432
	ds_write_b64 v4, v[0:1] offset:1728
	ds_read_b64 v[0:1], v4 offset:1512
	ds_read_b64 v[2:3], v36 offset:648
	s_waitcnt lgkmcnt(0)
	v_pk_add_f32 v[6:7], v[2:3], v[0:1]
	v_pk_add_f32 v[0:1], v[2:3], v[0:1] neg_lo:[0,1] neg_hi:[0,1]
	v_mov_b32_e32 v2, v7
	v_mov_b32_e32 v3, v0
	v_mov_b32_e32 v7, v1
	;; [unrolled: 21-line block ×3, first 2 shown]
	s_waitcnt vmcnt(0)
	v_pk_mul_f32 v[8:9], v[2:3], v[10:11] op_sel:[0,1]
	s_nop 0
	v_pk_add_f32 v[12:13], v[6:7], v[8:9] op_sel:[0,1] op_sel_hi:[1,0]
	v_mov_b32_e32 v7, v8
	v_mov_b32_e32 v0, v9
	v_pk_fma_f32 v[8:9], v[10:11], v[2:3], v[12:13] neg_lo:[1,0,0] neg_hi:[1,0,0]
	v_pk_fma_f32 v[12:13], v[10:11], v[2:3], v[12:13] op_sel_hi:[0,1,1]
	v_pk_add_f32 v[0:1], v[6:7], v[0:1] neg_lo:[0,1] neg_hi:[0,1]
	v_mov_b32_e32 v9, v13
	v_pk_fma_f32 v[0:1], v[10:11], v[2:3], v[0:1] op_sel_hi:[0,1,1]
	ds_write_b64 v36, v[8:9] offset:864
	ds_write_b64 v4, v[0:1] offset:1296
	s_waitcnt lgkmcnt(0)
	s_barrier
	s_barrier
	ds_read2_b64 v[0:3], v25 offset0:27 offset1:54
	ds_read2_b64 v[4:7], v25 offset0:81 offset1:108
	ds_read_b64 v[16:17], v36
	ds_read_b64 v[18:19], v25 offset:1944
	ds_read2_b64 v[8:11], v25 offset0:135 offset1:162
	ds_read2_b64 v[12:15], v25 offset0:189 offset1:216
	s_waitcnt lgkmcnt(4)
	v_mov_b32_e32 v30, v4
	v_mov_b32_e32 v40, v5
	s_waitcnt lgkmcnt(2)
	v_pk_add_f32 v[26:27], v[4:5], v[18:19]
	s_waitcnt lgkmcnt(1)
	v_mov_b32_e32 v28, v8
	s_waitcnt lgkmcnt(0)
	v_mov_b32_e32 v29, v12
	v_mov_b32_e32 v31, v18
	;; [unrolled: 1-line block ×5, first 2 shown]
	v_pk_add_f32 v[32:33], v[0:1], v[4:5]
	v_pk_add_f32 v[42:43], v[6:7], v[10:11]
	v_fma_f32 v55, -0.5, v26, v0
	v_pk_add_f32 v[28:29], v[28:29], v[30:31] neg_lo:[0,1] neg_hi:[0,1]
	v_fma_f32 v56, -0.5, v27, v1
	v_pk_add_f32 v[26:27], v[38:39], v[40:41] neg_lo:[0,1] neg_hi:[0,1]
	v_pk_add_f32 v[30:31], v[32:33], v[8:9]
	v_pk_fma_f32 v[32:33], v[42:43], 0.5, v[16:17] op_sel_hi:[1,0,1] neg_lo:[1,0,0] neg_hi:[1,0,0]
	v_mov_b32_e32 v42, v29
	v_mov_b32_e32 v48, v27
	v_pk_add_f32 v[44:45], v[2:3], v[14:15] neg_lo:[0,1] neg_hi:[0,1]
	v_pk_add_f32 v[28:29], v[28:29], v[42:43]
	v_pk_add_f32 v[26:27], v[26:27], v[48:49]
	v_pk_add_f32 v[42:43], v[2:3], v[6:7] neg_lo:[0,1] neg_hi:[0,1]
	v_pk_add_f32 v[48:49], v[14:15], v[10:11] neg_lo:[0,1] neg_hi:[0,1]
	;; [unrolled: 1-line block ×3, first 2 shown]
	v_pk_mul_f32 v[38:39], v[44:45], s[0:1] op_sel_hi:[1,0]
	v_pk_add_f32 v[42:43], v[42:43], v[48:49]
	v_pk_add_f32 v[48:49], v[8:9], v[12:13]
	v_pk_mul_f32 v[40:41], v[46:47], s[2:3] op_sel_hi:[1,0]
	v_pk_add_f32 v[50:51], v[32:33], v[38:39] op_sel:[0,1] op_sel_hi:[1,0]
	v_pk_fma_f32 v[0:1], v[48:49], 0.5, v[0:1] op_sel_hi:[1,0,1] neg_lo:[1,0,0] neg_hi:[1,0,0]
	v_pk_add_f32 v[48:49], v[4:5], v[18:19] neg_lo:[0,1] neg_hi:[0,1]
	v_pk_add_f32 v[30:31], v[30:31], v[12:13]
	v_pk_add_f32 v[32:33], v[32:33], v[38:39] op_sel:[0,1] op_sel_hi:[1,0] neg_lo:[0,1] neg_hi:[0,1]
	v_pk_add_f32 v[38:39], v[40:41], v[50:51] op_sel:[1,0] op_sel_hi:[0,1]
	v_pk_mul_f32 v[50:51], v[48:49], s[0:1] op_sel_hi:[1,0]
	v_pk_add_f32 v[4:5], v[4:5], v[8:9] neg_lo:[0,1] neg_hi:[0,1]
	v_pk_add_f32 v[8:9], v[8:9], v[12:13] neg_lo:[0,1] neg_hi:[0,1]
	v_pk_add_f32 v[30:31], v[30:31], v[18:19]
	v_pk_add_f32 v[32:33], v[32:33], v[40:41] op_sel:[0,1] op_sel_hi:[1,0] neg_lo:[0,1] neg_hi:[0,1]
	v_pk_add_f32 v[52:53], v[0:1], v[50:51] op_sel:[0,1] op_sel_hi:[1,0]
	v_pk_add_f32 v[18:19], v[18:19], v[12:13] neg_lo:[0,1] neg_hi:[0,1]
	v_pk_add_f32 v[0:1], v[0:1], v[50:51] op_sel:[0,1] op_sel_hi:[1,0] neg_lo:[0,1] neg_hi:[0,1]
	v_pk_mul_f32 v[12:13], v[8:9], s[2:3] op_sel_hi:[1,0]
	v_mov_b32_e32 v40, v32
	v_mov_b32_e32 v41, v39
	v_pk_add_f32 v[4:5], v[4:5], v[18:19]
	v_pk_add_f32 v[18:19], v[12:13], v[52:53] op_sel:[1,0] op_sel_hi:[0,1]
	v_pk_add_f32 v[0:1], v[0:1], v[12:13] op_sel:[0,1] op_sel_hi:[1,0] neg_lo:[0,1] neg_hi:[0,1]
	v_pk_fma_f32 v[40:41], v[42:43], s[6:7], v[40:41] op_sel_hi:[1,0,1]
	v_pk_fma_f32 v[12:13], v[4:5], s[6:7], v[18:19] op_sel_hi:[1,0,1]
	s_mov_b32 s7, s2
	v_mov_b32_e32 v18, v0
	v_pk_fma_f32 v[18:19], v[4:5], s[6:7], v[18:19] op_sel_hi:[1,0,1]
	v_pk_fma_f32 v[0:1], v[4:5], s[6:7], v[0:1] op_sel_hi:[1,0,1]
	v_pk_mul_f32 v[4:5], v[18:19], s[2:3] op_sel_hi:[1,0]
	v_fmamk_f32 v32, v9, 0x3f737871, v55
	v_fmac_f32_e32 v55, 0xbf737871, v9
	v_fmamk_f32 v39, v8, 0xbf737871, v56
	v_fmac_f32_e32 v56, 0x3f737871, v8
	v_pk_fma_f32 v[8:9], v[18:19], s[8:9], v[4:5] op_sel:[0,0,1] op_sel_hi:[1,0,0] neg_lo:[0,0,1] neg_hi:[0,0,1]
	v_pk_fma_f32 v[4:5], v[18:19], s[8:9], v[4:5] op_sel:[0,0,1] op_sel_hi:[1,0,0]
	s_mov_b32 s8, 0xbf4f1bbd
	s_mov_b32 s11, s8
	v_pk_add_f32 v[20:21], v[16:17], v[2:3]
	v_mov_b32_e32 v29, v49
	s_mov_b32 s9, s2
	v_pk_mul_f32 v[0:1], v[0:1], s[10:11] op_sel:[1,0]
	v_pk_add_f32 v[20:21], v[20:21], v[6:7]
	v_pk_mul_f32 v[28:29], v[28:29], s[6:7]
	v_pk_fma_f32 v[0:1], v[12:13], s[8:9], v[0:1] op_sel_hi:[0,1,1]
	v_pk_add_f32 v[12:13], v[2:3], v[14:15]
	v_pk_add_f32 v[2:3], v[6:7], v[2:3] neg_lo:[0,1] neg_hi:[0,1]
	v_pk_add_f32 v[6:7], v[10:11], v[14:15] neg_lo:[0,1] neg_hi:[0,1]
	v_pk_add_f32 v[20:21], v[20:21], v[10:11]
	v_mov_b32_e32 v27, v48
	v_sub_f32_e32 v4, v32, v29
	v_pk_fma_f32 v[12:13], v[12:13], 0.5, v[16:17] op_sel_hi:[1,0,1] neg_lo:[1,0,0] neg_hi:[1,0,0]
	v_pk_add_f32 v[2:3], v[2:3], v[6:7]
	v_pk_mul_f32 v[6:7], v[46:47], s[0:1] op_sel_hi:[1,0]
	v_pk_add_f32 v[20:21], v[20:21], v[14:15]
	v_add_f32_e32 v32, v28, v4
	v_add_f32_e32 v4, v29, v55
	v_pk_mul_f32 v[26:27], v[26:27], s[6:7]
	v_pk_mul_f32 v[10:11], v[44:45], s[2:3] op_sel_hi:[1,0]
	v_pk_add_f32 v[14:15], v[12:13], v[6:7] op_sel:[0,1] op_sel_hi:[1,0]
	v_pk_add_f32 v[6:7], v[12:13], v[6:7] op_sel:[0,1] op_sel_hi:[1,0] neg_lo:[0,1] neg_hi:[0,1]
	v_add_f32_e32 v28, v28, v4
	v_add_f32_e32 v4, v27, v39
	v_pk_add_f32 v[6:7], v[6:7], v[10:11] op_sel:[0,1] op_sel_hi:[1,0]
	v_pk_add_f32 v[10:11], v[14:15], v[10:11] op_sel:[0,1] op_sel_hi:[1,0] neg_lo:[0,1] neg_hi:[0,1]
	v_add_f32_e32 v48, v26, v4
	v_sub_f32_e32 v4, v56, v27
	v_mov_b32_e32 v9, v5
	v_mov_b32_e32 v39, v33
	;; [unrolled: 1-line block ×4, first 2 shown]
	s_mov_b32 s1, s6
	v_pk_add_f32 v[18:19], v[20:21], v[30:31]
	v_add_f32_e32 v26, v26, v4
	v_pk_add_f32 v[50:51], v[40:41], v[8:9]
	v_pk_fma_f32 v[38:39], v[42:43], s[6:7], v[38:39] op_sel_hi:[1,0,1]
	v_pk_fma_f32 v[12:13], v[2:3], s[6:7], v[12:13] op_sel_hi:[1,0,1]
	s_mov_b32 s7, s0
	v_pk_mul_f32 v[14:15], v[48:49], s[0:1] op_sel_hi:[0,1]
	s_barrier
	ds_write2_b64 v54, v[18:19], v[50:51] offset1:1
	v_pk_fma_f32 v[16:17], v[32:33], s[6:7], v[14:15] neg_lo:[0,0,1] neg_hi:[0,0,1]
	v_pk_fma_f32 v[14:15], v[32:33], s[6:7], v[14:15] op_sel_hi:[0,1,1]
	s_mov_b32 s2, 0xbe9e377a
	s_mov_b32 s3, s0
	v_pk_mul_f32 v[18:19], v[26:27], s[0:1] op_sel_hi:[0,1]
	v_mov_b32_e32 v7, v11
	v_mov_b32_e32 v17, v15
	v_pk_fma_f32 v[18:19], v[28:29], s[2:3], v[18:19] op_sel_hi:[0,1,1] neg_lo:[0,0,1] neg_hi:[0,0,1]
	v_pk_fma_f32 v[2:3], v[2:3], s[6:7], v[6:7] op_sel_hi:[1,0,1]
	v_pk_add_f32 v[14:15], v[12:13], v[16:17]
	v_pk_add_f32 v[6:7], v[2:3], v[18:19]
	v_pk_add_f32 v[4:5], v[38:39], v[0:1] neg_lo:[0,1] neg_hi:[0,1]
	ds_write2_b64 v54, v[14:15], v[6:7] offset0:2 offset1:3
	v_pk_add_f32 v[0:1], v[38:39], v[0:1]
	v_pk_add_f32 v[6:7], v[20:21], v[30:31] neg_lo:[0,1] neg_hi:[0,1]
	ds_write2_b64 v54, v[0:1], v[6:7] offset0:4 offset1:5
	v_pk_add_f32 v[0:1], v[40:41], v[8:9] neg_lo:[0,1] neg_hi:[0,1]
	v_pk_add_f32 v[6:7], v[12:13], v[16:17] neg_lo:[0,1] neg_hi:[0,1]
	ds_write2_b64 v54, v[0:1], v[6:7] offset0:6 offset1:7
	v_pk_add_f32 v[0:1], v[2:3], v[18:19] neg_lo:[0,1] neg_hi:[0,1]
	ds_write2_b64 v54, v[0:1], v[4:5] offset0:8 offset1:9
	s_waitcnt lgkmcnt(0)
	s_barrier
	ds_read_b64 v[26:27], v36
	ds_read2_b64 v[0:3], v25 offset0:90 offset1:117
	ds_read2_b64 v[10:13], v25 offset0:144 offset1:180
	;; [unrolled: 1-line block ×4, first 2 shown]
	v_cmp_gt_u32_e64 s[0:1], 9, v24
                                        ; implicit-def: $vgpr30
                                        ; implicit-def: $vgpr20
                                        ; implicit-def: $vgpr28
                                        ; implicit-def: $vgpr18
	s_and_saveexec_b64 s[2:3], s[0:1]
	s_cbranch_execz .LBB0_19
; %bb.18:
	ds_read2_b64 v[18:21], v25 offset0:81 offset1:171
	ds_read_b64 v[28:29], v25 offset:2088
	s_waitcnt lgkmcnt(1)
	v_mov_b32_e32 v30, v21
	v_mov_b64_e32 v[4:5], v[18:19]
	s_waitcnt lgkmcnt(0)
	v_mov_b32_e32 v18, v29
.LBB0_19:
	s_or_b64 exec, exec, s[2:3]
	v_add_u32_e32 v39, 54, v24
	s_movk_i32 s2, 0xcd
	v_add_u32_e32 v38, 0x51, v24
	v_mul_lo_u16_sdwa v19, v39, s2 dst_sel:DWORD dst_unused:UNUSED_PAD src0_sel:BYTE_0 src1_sel:DWORD
	v_lshrrev_b16_e32 v29, 11, v19
	v_mul_lo_u16_sdwa v19, v38, s2 dst_sel:DWORD dst_unused:UNUSED_PAD src0_sel:BYTE_0 src1_sel:DWORD
	v_lshrrev_b16_e32 v19, 11, v19
	v_mul_lo_u16_e32 v19, 10, v19
	v_mov_b32_e32 v21, 4
	v_sub_u16_e32 v19, v38, v19
	v_lshlrev_b32_sdwa v31, v21, v19 dst_sel:DWORD dst_unused:UNUSED_PAD src0_sel:DWORD src1_sel:BYTE_0
	global_load_dwordx4 v[42:45], v31, s[4:5]
	v_mul_lo_u16_e32 v31, 10, v29
	v_sub_u16_e32 v31, v39, v31
	v_lshlrev_b32_sdwa v32, v21, v31 dst_sel:DWORD dst_unused:UNUSED_PAD src0_sel:DWORD src1_sel:BYTE_0
	v_add_u32_e32 v40, 27, v24
	global_load_dwordx4 v[46:49], v32, s[4:5]
	v_mul_lo_u16_sdwa v32, v40, s2 dst_sel:DWORD dst_unused:UNUSED_PAD src0_sel:BYTE_0 src1_sel:DWORD
	v_lshrrev_b16_e32 v32, 11, v32
	v_mul_lo_u16_e32 v33, 10, v32
	v_sub_u16_e32 v33, v40, v33
	v_lshlrev_b32_sdwa v41, v21, v33 dst_sel:DWORD dst_unused:UNUSED_PAD src0_sel:DWORD src1_sel:BYTE_0
	global_load_dwordx4 v[50:53], v41, s[4:5]
	v_mul_lo_u16_sdwa v41, v24, s2 dst_sel:DWORD dst_unused:UNUSED_PAD src0_sel:BYTE_0 src1_sel:DWORD
	v_lshrrev_b16_e32 v41, 11, v41
	v_mul_lo_u16_e32 v54, 10, v41
	v_sub_u16_e32 v58, v24, v54
	v_lshlrev_b32_sdwa v21, v21, v58 dst_sel:DWORD dst_unused:UNUSED_PAD src0_sel:DWORD src1_sel:BYTE_0
	global_load_dwordx4 v[54:57], v21, s[4:5]
	s_movk_i32 s3, 0xf0
	v_mov_b32_e32 v21, 3
	v_mad_u32_u24 v32, v32, s3, 0
	v_mad_u32_u24 v29, v29, s3, 0
	v_lshlrev_b32_sdwa v33, v21, v33 dst_sel:DWORD dst_unused:UNUSED_PAD src0_sel:DWORD src1_sel:BYTE_0
	v_lshlrev_b32_sdwa v31, v21, v31 dst_sel:DWORD dst_unused:UNUSED_PAD src0_sel:DWORD src1_sel:BYTE_0
	v_mad_u32_u24 v41, v41, s3, 0
	v_lshlrev_b32_sdwa v58, v21, v58 dst_sel:DWORD dst_unused:UNUSED_PAD src0_sel:DWORD src1_sel:BYTE_0
	v_add3_u32 v62, v32, v33, v35
	v_add3_u32 v63, v29, v31, v35
	;; [unrolled: 1-line block ×3, first 2 shown]
	s_mov_b32 s2, 0x3f5db3d7
	s_waitcnt lgkmcnt(0)
	s_barrier
	s_waitcnt vmcnt(3)
	v_pk_mul_f32 v[30:31], v[30:31], v[42:43] op_sel_hi:[0,1]
	v_pk_mul_f32 v[32:33], v[18:19], v[44:45] op_sel_hi:[0,1]
	v_pk_fma_f32 v[58:59], v[20:21], v[42:43], v[30:31] op_sel:[0,0,1] op_sel_hi:[1,1,0]
	v_pk_fma_f32 v[30:31], v[20:21], v[42:43], v[30:31] op_sel:[0,0,1] op_sel_hi:[0,1,0] neg_lo:[1,0,0] neg_hi:[1,0,0]
	v_pk_fma_f32 v[60:61], v[28:29], v[44:45], v[32:33] op_sel:[0,0,1] op_sel_hi:[1,1,0]
	s_waitcnt vmcnt(2)
	v_pk_mul_f32 v[42:43], v[46:47], v[10:11] op_sel:[0,1]
	v_pk_fma_f32 v[28:29], v[28:29], v[44:45], v[32:33] op_sel:[0,0,1] op_sel_hi:[0,1,0] neg_lo:[1,0,0] neg_hi:[1,0,0]
	v_pk_mul_f32 v[32:33], v[48:49], v[16:17] op_sel:[0,1]
	v_pk_fma_f32 v[44:45], v[46:47], v[10:11], v[42:43] op_sel:[0,0,1] op_sel_hi:[1,1,0]
	v_pk_fma_f32 v[10:11], v[46:47], v[10:11], v[42:43] op_sel:[0,0,1] op_sel_hi:[1,0,0] neg_lo:[1,0,0] neg_hi:[1,0,0]
	v_pk_fma_f32 v[42:43], v[48:49], v[16:17], v[32:33] op_sel:[0,0,1] op_sel_hi:[1,1,0]
	v_pk_fma_f32 v[16:17], v[48:49], v[16:17], v[32:33] op_sel:[0,0,1] op_sel_hi:[1,0,0] neg_lo:[1,0,0] neg_hi:[1,0,0]
	s_waitcnt vmcnt(1)
	v_pk_mul_f32 v[32:33], v[52:53], v[14:15] op_sel:[0,1]
	v_mov_b32_e32 v59, v31
	v_pk_fma_f32 v[46:47], v[52:53], v[14:15], v[32:33] op_sel:[0,0,1] op_sel_hi:[1,1,0]
	v_pk_fma_f32 v[14:15], v[52:53], v[14:15], v[32:33] op_sel:[0,0,1] op_sel_hi:[1,0,0] neg_lo:[1,0,0] neg_hi:[1,0,0]
	v_pk_mul_f32 v[32:33], v[50:51], v[2:3] op_sel:[0,1]
	v_mov_b32_e32 v61, v29
	v_pk_fma_f32 v[48:49], v[50:51], v[2:3], v[32:33] op_sel:[0,0,1] op_sel_hi:[1,1,0]
	v_pk_fma_f32 v[2:3], v[50:51], v[2:3], v[32:33] op_sel:[0,0,1] op_sel_hi:[1,0,0] neg_lo:[1,0,0] neg_hi:[1,0,0]
	s_waitcnt vmcnt(0)
	v_pk_mul_f32 v[32:33], v[54:55], v[0:1] op_sel:[0,1]
	v_mov_b32_e32 v49, v3
	v_pk_fma_f32 v[50:51], v[54:55], v[0:1], v[32:33] op_sel:[0,0,1] op_sel_hi:[1,1,0]
	v_pk_fma_f32 v[0:1], v[54:55], v[0:1], v[32:33] op_sel:[0,0,1] op_sel_hi:[1,0,0] neg_lo:[1,0,0] neg_hi:[1,0,0]
	v_pk_mul_f32 v[32:33], v[56:57], v[12:13] op_sel:[0,1]
	v_mov_b32_e32 v45, v11
	v_pk_fma_f32 v[52:53], v[56:57], v[12:13], v[32:33] op_sel:[0,0,1] op_sel_hi:[1,1,0]
	v_pk_fma_f32 v[12:13], v[56:57], v[12:13], v[32:33] op_sel:[0,0,1] op_sel_hi:[1,0,0] neg_lo:[1,0,0] neg_hi:[1,0,0]
	v_mov_b32_e32 v43, v17
	v_mov_b32_e32 v47, v15
	;; [unrolled: 1-line block ×4, first 2 shown]
	v_pk_add_f32 v[0:1], v[4:5], v[58:59]
	v_pk_add_f32 v[10:11], v[58:59], v[60:61]
	v_pk_add_f32 v[12:13], v[58:59], v[60:61] neg_lo:[0,1] neg_hi:[0,1]
	v_pk_add_f32 v[16:17], v[6:7], v[48:49]
	v_pk_add_f32 v[54:55], v[50:51], v[52:53]
	;; [unrolled: 1-line block ×3, first 2 shown]
	v_pk_fma_f32 v[0:1], v[10:11], 0.5, v[4:5] op_sel_hi:[1,0,1] neg_lo:[1,0,0] neg_hi:[1,0,0]
	v_pk_mul_f32 v[4:5], v[12:13], s[2:3] op_sel_hi:[1,0]
	v_pk_add_f32 v[12:13], v[16:17], v[46:47]
	v_pk_add_f32 v[16:17], v[50:51], v[52:53] neg_lo:[0,1] neg_hi:[0,1]
	v_pk_add_f32 v[32:33], v[0:1], v[4:5] op_sel:[0,1] op_sel_hi:[1,0] neg_lo:[0,1] neg_hi:[0,1]
	v_pk_add_f32 v[4:5], v[0:1], v[4:5] op_sel:[0,1] op_sel_hi:[1,0]
	v_pk_fma_f32 v[0:1], v[54:55], 0.5, v[26:27] op_sel_hi:[1,0,1] neg_lo:[1,0,0] neg_hi:[1,0,0]
	v_pk_mul_f32 v[16:17], v[16:17], s[2:3] op_sel_hi:[1,0]
	v_pk_add_f32 v[28:29], v[26:27], v[50:51]
	v_pk_add_f32 v[26:27], v[0:1], v[16:17] op_sel:[0,1] op_sel_hi:[1,0] neg_lo:[0,1] neg_hi:[0,1]
	v_pk_add_f32 v[0:1], v[0:1], v[16:17] op_sel:[0,1] op_sel_hi:[1,0]
	v_pk_add_f32 v[14:15], v[8:9], v[44:45]
	v_mov_b32_e32 v17, v1
	v_mov_b32_e32 v1, v27
	ds_write_b64 v41, v[0:1] offset:160
	v_pk_add_f32 v[0:1], v[48:49], v[46:47]
	v_pk_add_f32 v[10:11], v[14:15], v[42:43]
	v_pk_fma_f32 v[0:1], v[0:1], 0.5, v[6:7] op_sel_hi:[1,0,1] neg_lo:[1,0,0] neg_hi:[1,0,0]
	v_pk_add_f32 v[6:7], v[48:49], v[46:47] neg_lo:[0,1] neg_hi:[0,1]
	v_pk_add_f32 v[14:15], v[28:29], v[52:53]
	v_mov_b32_e32 v16, v26
	v_pk_mul_f32 v[6:7], v[6:7], s[2:3] op_sel_hi:[1,0]
	ds_write2_b64 v41, v[14:15], v[16:17] offset1:10
	v_pk_add_f32 v[14:15], v[0:1], v[6:7] op_sel:[0,1] op_sel_hi:[1,0] neg_lo:[0,1] neg_hi:[0,1]
	v_pk_add_f32 v[0:1], v[0:1], v[6:7] op_sel:[0,1] op_sel_hi:[1,0]
	v_mov_b32_e32 v6, v14
	v_mov_b32_e32 v7, v1
	;; [unrolled: 1-line block ×3, first 2 shown]
	ds_write2_b64 v62, v[12:13], v[6:7] offset1:10
	ds_write_b64 v62, v[0:1] offset:160
	v_pk_add_f32 v[0:1], v[44:45], v[42:43]
	v_pk_add_f32 v[6:7], v[44:45], v[42:43] neg_lo:[0,1] neg_hi:[0,1]
	v_pk_fma_f32 v[0:1], v[0:1], 0.5, v[8:9] op_sel_hi:[1,0,1] neg_lo:[1,0,0] neg_hi:[1,0,0]
	v_pk_mul_f32 v[6:7], v[6:7], s[2:3] op_sel_hi:[1,0]
	v_mov_b32_e32 v30, v4
	v_pk_add_f32 v[8:9], v[0:1], v[6:7] op_sel:[0,1] op_sel_hi:[1,0] neg_lo:[0,1] neg_hi:[0,1]
	v_pk_add_f32 v[0:1], v[0:1], v[6:7] op_sel:[0,1] op_sel_hi:[1,0]
	v_mov_b32_e32 v31, v33
	v_mov_b32_e32 v6, v8
	;; [unrolled: 1-line block ×4, first 2 shown]
	ds_write2_b64 v63, v[10:11], v[6:7] offset1:10
	ds_write_b64 v63, v[0:1] offset:160
	s_and_saveexec_b64 s[2:3], s[0:1]
	s_cbranch_execz .LBB0_21
; %bb.20:
	v_lshlrev_b32_sdwa v0, v21, v19 dst_sel:DWORD dst_unused:UNUSED_PAD src0_sel:DWORD src1_sel:BYTE_0
	v_add3_u32 v0, 0, v0, v35
	v_mov_b32_e32 v33, v5
	ds_write2_b64 v0, v[2:3], v[32:33] offset0:240 offset1:250
	ds_write_b64 v0, v[30:31] offset:2080
.LBB0_21:
	s_or_b64 exec, exec, s[2:3]
	s_waitcnt lgkmcnt(0)
	s_barrier
	ds_read_b64 v[0:1], v36
	ds_read2_b64 v[18:21], v25 offset0:90 offset1:117
	ds_read2_b64 v[10:13], v25 offset0:144 offset1:180
	ds_read2_b64 v[6:9], v25 offset0:27 offset1:54
	ds_read2_b64 v[14:17], v25 offset0:207 offset1:234
	s_and_saveexec_b64 s[2:3], s[0:1]
	s_cbranch_execz .LBB0_23
; %bb.22:
	ds_read2_b64 v[2:5], v25 offset0:81 offset1:171
	ds_read_b64 v[30:31], v25 offset:2088
	s_waitcnt lgkmcnt(1)
	v_mov_b32_e32 v32, v4
.LBB0_23:
	s_or_b64 exec, exec, s[2:3]
	s_movk_i32 s6, 0x89
	v_mul_lo_u16_sdwa v4, v38, s6 dst_sel:DWORD dst_unused:UNUSED_PAD src0_sel:BYTE_0 src1_sel:DWORD
	v_lshrrev_b16_e32 v4, 12, v4
	v_mul_lo_u16_e32 v4, 30, v4
	v_mov_b32_e32 v33, 4
	v_sub_u16_e32 v4, v38, v4
	v_lshlrev_b32_sdwa v26, v33, v4 dst_sel:DWORD dst_unused:UNUSED_PAD src0_sel:DWORD src1_sel:BYTE_0
	global_load_dwordx4 v[42:45], v26, s[4:5] offset:160
	v_add_u32_e32 v41, -3, v24
	s_waitcnt lgkmcnt(0)
	v_mov_b32_e32 v54, v31
	v_cmp_gt_u32_e64 s[2:3], 3, v24
	v_mul_lo_u16_sdwa v31, v39, s6 dst_sel:DWORD dst_unused:UNUSED_PAD src0_sel:BYTE_0 src1_sel:DWORD
	v_mov_b32_e32 v50, v5
	v_cndmask_b32_e64 v5, v41, v40, s[2:3]
	v_lshrrev_b16_e32 v41, 12, v31
	v_mul_lo_u16_e32 v31, 30, v41
	v_sub_u16_e32 v60, v39, v31
	v_lshlrev_b32_sdwa v31, v33, v60 dst_sel:DWORD dst_unused:UNUSED_PAD src0_sel:DWORD src1_sel:BYTE_0
	global_load_dwordx4 v[46:49], v31, s[4:5] offset:160
	v_lshlrev_b32_e32 v26, 1, v24
	v_mov_b32_e32 v27, 0
	v_lshl_add_u64 v[28:29], v[26:27], 3, s[4:5]
	v_lshlrev_b32_e32 v26, 1, v5
	v_lshl_add_u64 v[26:27], v[26:27], 3, s[4:5]
	v_cmp_lt_u32_e64 s[2:3], 2, v24
	v_lshlrev_b32_e32 v5, 3, v5
	s_movk_i32 s7, 0x2d0
	s_mov_b32 s6, 0x3f5db3d7
	s_waitcnt vmcnt(1)
	v_pk_mul_f32 v[56:57], v[50:51], v[42:43] op_sel_hi:[0,1]
	global_load_dwordx4 v[50:53], v[26:27], off offset:160
	v_pk_mul_f32 v[26:27], v[54:55], v[44:45] op_sel_hi:[0,1]
	v_pk_fma_f32 v[54:55], v[32:33], v[42:43], v[56:57] op_sel:[0,0,1] op_sel_hi:[1,1,0]
	v_pk_fma_f32 v[42:43], v[32:33], v[42:43], v[56:57] op_sel:[0,0,1] op_sel_hi:[0,1,0] neg_lo:[1,0,0] neg_hi:[1,0,0]
	v_pk_fma_f32 v[56:57], v[30:31], v[44:45], v[26:27] op_sel:[0,0,1] op_sel_hi:[1,1,0]
	v_pk_fma_f32 v[26:27], v[30:31], v[44:45], v[26:27] op_sel:[0,0,1] op_sel_hi:[0,1,0] neg_lo:[1,0,0] neg_hi:[1,0,0]
	global_load_dwordx4 v[30:33], v[28:29], off offset:160
	v_mov_b32_e32 v55, v43
	s_barrier
	v_mov_b32_e32 v57, v27
	v_pk_add_f32 v[26:27], v[54:55], v[56:57] neg_lo:[0,1] neg_hi:[0,1]
	s_waitcnt vmcnt(1)
	v_pk_mul_f32 v[44:45], v[50:51], v[20:21] op_sel:[0,1]
	s_nop 0
	v_pk_fma_f32 v[58:59], v[50:51], v[20:21], v[44:45] op_sel:[0,0,1] op_sel_hi:[1,1,0]
	v_pk_fma_f32 v[20:21], v[50:51], v[20:21], v[44:45] op_sel:[0,0,1] op_sel_hi:[1,0,0] neg_lo:[1,0,0] neg_hi:[1,0,0]
	v_pk_mul_f32 v[44:45], v[52:53], v[14:15] op_sel:[0,1]
	v_mov_b32_e32 v59, v21
	v_pk_fma_f32 v[50:51], v[52:53], v[14:15], v[44:45] op_sel:[0,0,1] op_sel_hi:[1,1,0]
	v_pk_fma_f32 v[14:15], v[52:53], v[14:15], v[44:45] op_sel:[0,0,1] op_sel_hi:[1,0,0] neg_lo:[1,0,0] neg_hi:[1,0,0]
	s_waitcnt vmcnt(0)
	v_pk_mul_f32 v[44:45], v[30:31], v[18:19] op_sel:[0,1]
	v_pk_mul_f32 v[20:21], v[46:47], v[10:11] op_sel:[0,1]
	v_pk_fma_f32 v[52:53], v[30:31], v[18:19], v[44:45] op_sel:[0,0,1] op_sel_hi:[1,1,0]
	v_pk_fma_f32 v[18:19], v[30:31], v[18:19], v[44:45] op_sel:[0,0,1] op_sel_hi:[1,0,0] neg_lo:[1,0,0] neg_hi:[1,0,0]
	v_pk_mul_f32 v[30:31], v[32:33], v[12:13] op_sel:[0,1]
	v_mov_b32_e32 v51, v15
	v_pk_fma_f32 v[44:45], v[32:33], v[12:13], v[30:31] op_sel:[0,0,1] op_sel_hi:[1,1,0]
	v_pk_fma_f32 v[12:13], v[32:33], v[12:13], v[30:31] op_sel:[0,0,1] op_sel_hi:[1,0,0] neg_lo:[1,0,0] neg_hi:[1,0,0]
	v_mov_b32_e32 v53, v19
	v_mov_b32_e32 v12, 0x2d0
	v_cndmask_b32_e64 v12, 0, v12, s[2:3]
	v_add_u32_e32 v12, 0, v12
	v_add3_u32 v61, v12, v5, v35
	v_mov_b32_e32 v5, 3
	v_mad_u32_u24 v12, v41, s7, 0
	v_lshlrev_b32_sdwa v14, v5, v60 dst_sel:DWORD dst_unused:UNUSED_PAD src0_sel:DWORD src1_sel:BYTE_0
	v_add3_u32 v41, v12, v14, v35
	v_pk_mul_f32 v[14:15], v[48:49], v[16:17] op_sel:[0,1]
	v_mov_b32_e32 v45, v13
	v_pk_fma_f32 v[12:13], v[46:47], v[10:11], v[20:21] op_sel:[0,0,1] op_sel_hi:[1,1,0]
	v_pk_fma_f32 v[10:11], v[46:47], v[10:11], v[20:21] op_sel:[0,0,1] op_sel_hi:[1,0,0] neg_lo:[1,0,0] neg_hi:[1,0,0]
	v_pk_fma_f32 v[18:19], v[48:49], v[16:17], v[14:15] op_sel:[0,0,1] op_sel_hi:[1,1,0]
	v_pk_fma_f32 v[14:15], v[48:49], v[16:17], v[14:15] op_sel:[0,0,1] op_sel_hi:[1,0,0] neg_lo:[1,0,0] neg_hi:[1,0,0]
	v_pk_add_f32 v[16:17], v[6:7], v[58:59]
	v_pk_add_f32 v[30:31], v[52:53], v[44:45]
	v_pk_add_f32 v[32:33], v[52:53], v[44:45] neg_lo:[0,1] neg_hi:[0,1]
	v_mov_b32_e32 v13, v11
	v_pk_add_f32 v[10:11], v[16:17], v[50:51]
	v_pk_fma_f32 v[16:17], v[30:31], 0.5, v[0:1] op_sel_hi:[1,0,1] neg_lo:[1,0,0] neg_hi:[1,0,0]
	v_pk_mul_f32 v[30:31], v[32:33], s[6:7] op_sel_hi:[1,0]
	v_pk_add_f32 v[20:21], v[0:1], v[52:53]
	v_pk_add_f32 v[42:43], v[16:17], v[30:31] op_sel:[0,1] op_sel_hi:[1,0] neg_lo:[0,1] neg_hi:[0,1]
	v_pk_add_f32 v[16:17], v[16:17], v[30:31] op_sel:[0,1] op_sel_hi:[1,0]
	v_mov_b32_e32 v19, v15
	v_pk_add_f32 v[14:15], v[20:21], v[44:45]
	v_mov_b32_e32 v30, v42
	v_mov_b32_e32 v31, v17
	ds_write2_b64 v25, v[14:15], v[30:31] offset1:30
	v_pk_add_f32 v[14:15], v[58:59], v[50:51]
	v_mov_b32_e32 v17, v43
	v_pk_fma_f32 v[6:7], v[14:15], 0.5, v[6:7] op_sel_hi:[1,0,1] neg_lo:[1,0,0] neg_hi:[1,0,0]
	v_pk_add_f32 v[14:15], v[58:59], v[50:51] neg_lo:[0,1] neg_hi:[0,1]
	ds_write_b64 v25, v[16:17] offset:480
	v_pk_mul_f32 v[14:15], v[14:15], s[6:7] op_sel_hi:[1,0]
	v_pk_add_f32 v[20:21], v[54:55], v[56:57]
	v_pk_add_f32 v[16:17], v[6:7], v[14:15] op_sel:[0,1] op_sel_hi:[1,0] neg_lo:[0,1] neg_hi:[0,1]
	v_pk_add_f32 v[6:7], v[6:7], v[14:15] op_sel:[0,1] op_sel_hi:[1,0]
	v_pk_add_f32 v[32:33], v[8:9], v[12:13]
	v_mov_b32_e32 v15, v7
	v_mov_b32_e32 v7, v17
	ds_write_b64 v61, v[6:7] offset:480
	v_pk_add_f32 v[6:7], v[12:13], v[18:19]
	v_pk_add_f32 v[0:1], v[2:3], v[54:55]
	v_pk_fma_f32 v[6:7], v[6:7], 0.5, v[8:9] op_sel_hi:[1,0,1] neg_lo:[1,0,0] neg_hi:[1,0,0]
	v_pk_add_f32 v[8:9], v[12:13], v[18:19] neg_lo:[0,1] neg_hi:[0,1]
	v_pk_fma_f32 v[2:3], v[20:21], 0.5, v[2:3] op_sel_hi:[1,0,1] neg_lo:[1,0,0] neg_hi:[1,0,0]
	v_pk_mul_f32 v[20:21], v[26:27], s[6:7] op_sel_hi:[1,0]
	v_mov_b32_e32 v14, v16
	v_pk_mul_f32 v[8:9], v[8:9], s[6:7] op_sel_hi:[1,0]
	v_pk_add_f32 v[26:27], v[2:3], v[20:21] op_sel:[0,1] op_sel_hi:[1,0] neg_lo:[0,1] neg_hi:[0,1]
	v_pk_add_f32 v[2:3], v[2:3], v[20:21] op_sel:[0,1] op_sel_hi:[1,0]
	ds_write2_b64 v61, v[10:11], v[14:15] offset1:30
	v_pk_add_f32 v[10:11], v[6:7], v[8:9] op_sel:[0,1] op_sel_hi:[1,0] neg_lo:[0,1] neg_hi:[0,1]
	v_pk_add_f32 v[6:7], v[6:7], v[8:9] op_sel:[0,1] op_sel_hi:[1,0]
	v_pk_add_f32 v[0:1], v[0:1], v[56:57]
	v_pk_add_f32 v[32:33], v[32:33], v[18:19]
	v_mov_b32_e32 v20, v2
	v_mov_b32_e32 v21, v27
	;; [unrolled: 1-line block ×5, first 2 shown]
	ds_write2_b64 v41, v[32:33], v[8:9] offset1:30
	ds_write_b64 v41, v[6:7] offset:480
	s_and_saveexec_b64 s[2:3], s[0:1]
	s_cbranch_execz .LBB0_25
; %bb.24:
	v_lshlrev_b32_sdwa v2, v5, v4 dst_sel:DWORD dst_unused:UNUSED_PAD src0_sel:DWORD src1_sel:BYTE_0
	v_add3_u32 v2, 0, v2, v35
	v_mov_b32_e32 v27, v3
	ds_write2_b64 v2, v[0:1], v[26:27] offset0:180 offset1:210
	ds_write_b64 v2, v[20:21] offset:1920
.LBB0_25:
	s_or_b64 exec, exec, s[2:3]
	s_waitcnt lgkmcnt(0)
	s_barrier
	ds_read_b64 v[30:31], v36
	ds_read2_b64 v[16:19], v25 offset0:90 offset1:117
	ds_read2_b64 v[8:11], v25 offset0:144 offset1:180
	;; [unrolled: 1-line block ×4, first 2 shown]
	s_and_saveexec_b64 s[2:3], s[0:1]
	s_cbranch_execz .LBB0_27
; %bb.26:
	ds_read2_b64 v[0:3], v25 offset0:81 offset1:171
	ds_read_b64 v[20:21], v25 offset:2088
	s_waitcnt lgkmcnt(1)
	v_mov_b32_e32 v26, v2
.LBB0_27:
	s_or_b64 exec, exec, s[2:3]
	global_load_dwordx4 v[42:45], v[28:29], off offset:640
	v_lshlrev_b32_e32 v28, 1, v40
	v_mov_b32_e32 v29, 0
	v_lshl_add_u64 v[32:33], v[28:29], 3, s[4:5]
	v_lshlrev_b32_e32 v28, 1, v39
	global_load_dwordx4 v[46:49], v[32:33], off offset:640
	v_lshl_add_u64 v[32:33], v[28:29], 3, s[4:5]
	global_load_dwordx4 v[50:53], v[32:33], off offset:640
	v_mul_i32_i24_e32 v2, 0xffffffb8, v24
	v_add3_u32 v2, v37, v2, v35
	s_mov_b32 s2, 0x3f5db3d7
	s_waitcnt lgkmcnt(0)
	s_barrier
	s_waitcnt vmcnt(2)
	v_pk_mul_f32 v[32:33], v[42:43], v[16:17] op_sel:[0,1]
	v_pk_mul_f32 v[36:37], v[44:45], v[10:11] op_sel:[0,1]
	v_pk_fma_f32 v[40:41], v[42:43], v[16:17], v[32:33] op_sel:[0,0,1] op_sel_hi:[1,1,0]
	v_pk_fma_f32 v[16:17], v[42:43], v[16:17], v[32:33] op_sel:[0,0,1] op_sel_hi:[1,0,0] neg_lo:[1,0,0] neg_hi:[1,0,0]
	v_pk_fma_f32 v[32:33], v[44:45], v[10:11], v[36:37] op_sel:[0,0,1] op_sel_hi:[1,1,0]
	v_pk_fma_f32 v[10:11], v[44:45], v[10:11], v[36:37] op_sel:[0,0,1] op_sel_hi:[1,0,0] neg_lo:[1,0,0] neg_hi:[1,0,0]
	v_mov_b32_e32 v41, v17
	v_mov_b32_e32 v33, v11
	s_waitcnt vmcnt(1)
	v_pk_mul_f32 v[10:11], v[46:47], v[18:19] op_sel:[0,1]
	v_pk_mul_f32 v[16:17], v[48:49], v[12:13] op_sel:[0,1]
	v_pk_add_f32 v[36:37], v[30:31], v[40:41]
	v_pk_fma_f32 v[42:43], v[46:47], v[18:19], v[10:11] op_sel:[0,0,1] op_sel_hi:[1,1,0]
	v_pk_fma_f32 v[10:11], v[46:47], v[18:19], v[10:11] op_sel:[0,0,1] op_sel_hi:[1,0,0] neg_lo:[1,0,0] neg_hi:[1,0,0]
	v_pk_fma_f32 v[18:19], v[48:49], v[12:13], v[16:17] op_sel:[0,0,1] op_sel_hi:[1,1,0]
	v_pk_fma_f32 v[12:13], v[48:49], v[12:13], v[16:17] op_sel:[0,0,1] op_sel_hi:[1,0,0] neg_lo:[1,0,0] neg_hi:[1,0,0]
	s_waitcnt vmcnt(0)
	v_pk_mul_f32 v[16:17], v[50:51], v[8:9] op_sel:[0,1]
	v_pk_mul_f32 v[44:45], v[52:53], v[14:15] op_sel:[0,1]
	v_pk_add_f32 v[46:47], v[40:41], v[32:33]
	v_pk_add_f32 v[40:41], v[40:41], v[32:33] neg_lo:[0,1] neg_hi:[0,1]
	v_mov_b32_e32 v43, v11
	v_mov_b32_e32 v19, v13
	v_pk_fma_f32 v[10:11], v[50:51], v[8:9], v[16:17] op_sel:[0,0,1] op_sel_hi:[1,1,0]
	v_pk_fma_f32 v[8:9], v[50:51], v[8:9], v[16:17] op_sel:[0,0,1] op_sel_hi:[1,0,0] neg_lo:[1,0,0] neg_hi:[1,0,0]
	v_pk_fma_f32 v[12:13], v[52:53], v[14:15], v[44:45] op_sel:[0,0,1] op_sel_hi:[1,1,0]
	v_pk_fma_f32 v[14:15], v[52:53], v[14:15], v[44:45] op_sel:[0,0,1] op_sel_hi:[1,0,0] neg_lo:[1,0,0] neg_hi:[1,0,0]
	v_pk_fma_f32 v[16:17], v[46:47], 0.5, v[30:31] op_sel_hi:[1,0,1] neg_lo:[1,0,0] neg_hi:[1,0,0]
	v_pk_mul_f32 v[30:31], v[40:41], s[2:3] op_sel_hi:[1,0]
	v_pk_add_f32 v[32:33], v[36:37], v[32:33]
	v_pk_add_f32 v[36:37], v[4:5], v[42:43]
	v_mov_b32_e32 v11, v9
	v_mov_b32_e32 v13, v15
	v_pk_add_f32 v[8:9], v[16:17], v[30:31] op_sel:[0,1] op_sel_hi:[1,0] neg_lo:[0,1] neg_hi:[0,1]
	v_pk_add_f32 v[14:15], v[16:17], v[30:31] op_sel:[0,1] op_sel_hi:[1,0]
	v_pk_add_f32 v[16:17], v[42:43], v[18:19]
	v_pk_add_f32 v[30:31], v[42:43], v[18:19] neg_lo:[0,1] neg_hi:[0,1]
	v_pk_add_f32 v[18:19], v[36:37], v[18:19]
	v_pk_add_f32 v[36:37], v[6:7], v[10:11]
	v_mov_b32_e32 v40, v8
	v_mov_b32_e32 v41, v15
	v_mov_b32_e32 v15, v9
	v_pk_fma_f32 v[4:5], v[16:17], 0.5, v[4:5] op_sel_hi:[1,0,1] neg_lo:[1,0,0] neg_hi:[1,0,0]
	v_pk_mul_f32 v[8:9], v[30:31], s[2:3] op_sel_hi:[1,0]
	v_pk_add_f32 v[16:17], v[10:11], v[12:13]
	v_pk_add_f32 v[10:11], v[10:11], v[12:13] neg_lo:[0,1] neg_hi:[0,1]
	ds_write2_b64 v25, v[40:41], v[14:15] offset0:90 offset1:180
	ds_write2_b64 v25, v[32:33], v[18:19] offset1:27
	v_pk_add_f32 v[14:15], v[4:5], v[8:9] op_sel:[0,1] op_sel_hi:[1,0] neg_lo:[0,1] neg_hi:[0,1]
	v_pk_add_f32 v[4:5], v[4:5], v[8:9] op_sel:[0,1] op_sel_hi:[1,0]
	v_pk_fma_f32 v[6:7], v[16:17], 0.5, v[6:7] op_sel_hi:[1,0,1] neg_lo:[1,0,0] neg_hi:[1,0,0]
	v_pk_mul_f32 v[8:9], v[10:11], s[2:3] op_sel_hi:[1,0]
	v_mov_b32_e32 v10, v14
	v_mov_b32_e32 v11, v5
	;; [unrolled: 1-line block ×3, first 2 shown]
	v_pk_add_f32 v[14:15], v[6:7], v[8:9] op_sel:[0,1] op_sel_hi:[1,0] neg_lo:[0,1] neg_hi:[0,1]
	v_pk_add_f32 v[6:7], v[6:7], v[8:9] op_sel:[0,1] op_sel_hi:[1,0]
	v_pk_add_f32 v[12:13], v[36:37], v[12:13]
	ds_write_b64 v2, v[10:11] offset:936
	ds_write_b64 v2, v[4:5] offset:1656
	;; [unrolled: 1-line block ×3, first 2 shown]
	v_mov_b32_e32 v4, v14
	v_mov_b32_e32 v5, v7
	;; [unrolled: 1-line block ×3, first 2 shown]
	ds_write_b64 v2, v[4:5] offset:1152
	ds_write_b64 v2, v[6:7] offset:1872
	s_and_saveexec_b64 s[6:7], s[0:1]
	s_cbranch_execz .LBB0_29
; %bb.28:
	v_add_u32_e32 v2, -9, v24
	v_cndmask_b32_e64 v2, v2, v38, s[0:1]
	v_lshlrev_b32_e32 v28, 1, v2
	v_lshl_add_u64 v[4:5], v[28:29], 3, s[4:5]
	global_load_dwordx4 v[4:7], v[4:5], off offset:640
	v_mov_b32_e32 v2, v3
	v_mov_b32_e32 v8, v21
	s_waitcnt vmcnt(0)
	v_pk_mul_f32 v[2:3], v[2:3], v[4:5] op_sel_hi:[0,1]
	v_pk_mul_f32 v[8:9], v[8:9], v[6:7] op_sel_hi:[0,1]
	v_pk_fma_f32 v[10:11], v[26:27], v[4:5], v[2:3] op_sel:[0,0,1] op_sel_hi:[1,1,0]
	v_pk_fma_f32 v[2:3], v[26:27], v[4:5], v[2:3] op_sel:[0,0,1] op_sel_hi:[0,1,0] neg_lo:[1,0,0] neg_hi:[1,0,0]
	v_pk_fma_f32 v[4:5], v[20:21], v[6:7], v[8:9] op_sel:[0,0,1] op_sel_hi:[1,1,0]
	v_pk_fma_f32 v[6:7], v[20:21], v[6:7], v[8:9] op_sel:[0,0,1] op_sel_hi:[0,1,0] neg_lo:[1,0,0] neg_hi:[1,0,0]
	v_mov_b32_e32 v11, v3
	v_mov_b32_e32 v5, v7
	v_pk_add_f32 v[2:3], v[0:1], v[10:11]
	v_pk_add_f32 v[6:7], v[10:11], v[4:5]
	v_pk_add_f32 v[8:9], v[10:11], v[4:5] neg_lo:[0,1] neg_hi:[0,1]
	v_pk_add_f32 v[2:3], v[2:3], v[4:5]
	v_pk_fma_f32 v[0:1], -0.5, v[6:7], v[0:1] op_sel_hi:[0,1,1]
	v_pk_mul_f32 v[4:5], v[8:9], s[2:3] op_sel_hi:[1,0]
	s_nop 0
	v_pk_add_f32 v[6:7], v[0:1], v[4:5] op_sel:[0,1] op_sel_hi:[1,0] neg_lo:[0,1] neg_hi:[0,1]
	v_pk_add_f32 v[0:1], v[0:1], v[4:5] op_sel:[0,1] op_sel_hi:[1,0]
	v_mov_b32_e32 v4, v6
	v_mov_b32_e32 v5, v1
	;; [unrolled: 1-line block ×3, first 2 shown]
	ds_write2_b64 v25, v[2:3], v[4:5] offset0:81 offset1:171
	ds_write_b64 v25, v[0:1] offset:2088
.LBB0_29:
	s_or_b64 exec, exec, s[6:7]
	s_waitcnt lgkmcnt(0)
	s_barrier
	s_and_saveexec_b64 s[0:1], vcc
	s_cbranch_execz .LBB0_31
; %bb.30:
	v_lshl_add_u32 v8, v24, 3, v34
	ds_read2_b64 v[0:3], v8 offset1:27
	v_mov_b32_e32 v25, 0
	v_add_u32_e32 v4, 27, v24
	v_lshl_add_u64 v[6:7], v[24:25], 3, v[22:23]
	v_mov_b32_e32 v5, v25
	s_waitcnt lgkmcnt(0)
	global_store_dwordx2 v[6:7], v[0:1], off
	v_lshl_add_u64 v[0:1], v[4:5], 3, v[22:23]
	ds_read2_b64 v[4:7], v8 offset0:54 offset1:81
	global_store_dwordx2 v[0:1], v[2:3], off
	v_add_u32_e32 v0, 54, v24
	v_mov_b32_e32 v1, v25
	v_lshl_add_u64 v[0:1], v[0:1], 3, v[22:23]
	s_waitcnt lgkmcnt(0)
	global_store_dwordx2 v[0:1], v[4:5], off
	v_add_u32_e32 v0, 0x51, v24
	v_mov_b32_e32 v1, v25
	v_lshl_add_u64 v[4:5], v[0:1], 3, v[22:23]
	ds_read2_b64 v[0:3], v8 offset0:108 offset1:135
	global_store_dwordx2 v[4:5], v[6:7], off
	v_add_u32_e32 v4, 0x6c, v24
	v_mov_b32_e32 v5, v25
	v_lshl_add_u64 v[4:5], v[4:5], 3, v[22:23]
	s_waitcnt lgkmcnt(0)
	global_store_dwordx2 v[4:5], v[0:1], off
	ds_read2_b64 v[4:7], v8 offset0:162 offset1:189
	v_add_u32_e32 v0, 0x87, v24
	v_mov_b32_e32 v1, v25
	v_lshl_add_u64 v[0:1], v[0:1], 3, v[22:23]
	global_store_dwordx2 v[0:1], v[2:3], off
	v_add_u32_e32 v0, 0xa2, v24
	v_mov_b32_e32 v1, v25
	v_lshl_add_u64 v[0:1], v[0:1], 3, v[22:23]
	s_waitcnt lgkmcnt(0)
	global_store_dwordx2 v[0:1], v[4:5], off
	v_add_u32_e32 v0, 0xbd, v24
	v_mov_b32_e32 v1, v25
	v_lshl_add_u64 v[4:5], v[0:1], 3, v[22:23]
	ds_read2_b64 v[0:3], v8 offset0:216 offset1:243
	global_store_dwordx2 v[4:5], v[6:7], off
	v_add_u32_e32 v4, 0xd8, v24
	v_mov_b32_e32 v5, v25
	v_lshl_add_u64 v[4:5], v[4:5], 3, v[22:23]
	v_add_u32_e32 v24, 0xf3, v24
	s_waitcnt lgkmcnt(0)
	global_store_dwordx2 v[4:5], v[0:1], off
	v_lshl_add_u64 v[0:1], v[24:25], 3, v[22:23]
	global_store_dwordx2 v[0:1], v[2:3], off
.LBB0_31:
	s_endpgm
	.section	.rodata,"a",@progbits
	.p2align	6, 0x0
	.amdhsa_kernel fft_rtc_back_len270_factors_10_3_3_3_wgs_108_tpt_27_halfLds_sp_ip_CI_unitstride_sbrr_C2R_dirReg
		.amdhsa_group_segment_fixed_size 0
		.amdhsa_private_segment_fixed_size 0
		.amdhsa_kernarg_size 88
		.amdhsa_user_sgpr_count 2
		.amdhsa_user_sgpr_dispatch_ptr 0
		.amdhsa_user_sgpr_queue_ptr 0
		.amdhsa_user_sgpr_kernarg_segment_ptr 1
		.amdhsa_user_sgpr_dispatch_id 0
		.amdhsa_user_sgpr_kernarg_preload_length 0
		.amdhsa_user_sgpr_kernarg_preload_offset 0
		.amdhsa_user_sgpr_private_segment_size 0
		.amdhsa_uses_dynamic_stack 0
		.amdhsa_enable_private_segment 0
		.amdhsa_system_sgpr_workgroup_id_x 1
		.amdhsa_system_sgpr_workgroup_id_y 0
		.amdhsa_system_sgpr_workgroup_id_z 0
		.amdhsa_system_sgpr_workgroup_info 0
		.amdhsa_system_vgpr_workitem_id 0
		.amdhsa_next_free_vgpr 64
		.amdhsa_next_free_sgpr 22
		.amdhsa_accum_offset 64
		.amdhsa_reserve_vcc 1
		.amdhsa_float_round_mode_32 0
		.amdhsa_float_round_mode_16_64 0
		.amdhsa_float_denorm_mode_32 3
		.amdhsa_float_denorm_mode_16_64 3
		.amdhsa_dx10_clamp 1
		.amdhsa_ieee_mode 1
		.amdhsa_fp16_overflow 0
		.amdhsa_tg_split 0
		.amdhsa_exception_fp_ieee_invalid_op 0
		.amdhsa_exception_fp_denorm_src 0
		.amdhsa_exception_fp_ieee_div_zero 0
		.amdhsa_exception_fp_ieee_overflow 0
		.amdhsa_exception_fp_ieee_underflow 0
		.amdhsa_exception_fp_ieee_inexact 0
		.amdhsa_exception_int_div_zero 0
	.end_amdhsa_kernel
	.text
.Lfunc_end0:
	.size	fft_rtc_back_len270_factors_10_3_3_3_wgs_108_tpt_27_halfLds_sp_ip_CI_unitstride_sbrr_C2R_dirReg, .Lfunc_end0-fft_rtc_back_len270_factors_10_3_3_3_wgs_108_tpt_27_halfLds_sp_ip_CI_unitstride_sbrr_C2R_dirReg
                                        ; -- End function
	.section	.AMDGPU.csdata,"",@progbits
; Kernel info:
; codeLenInByte = 6468
; NumSgprs: 28
; NumVgprs: 64
; NumAgprs: 0
; TotalNumVgprs: 64
; ScratchSize: 0
; MemoryBound: 0
; FloatMode: 240
; IeeeMode: 1
; LDSByteSize: 0 bytes/workgroup (compile time only)
; SGPRBlocks: 3
; VGPRBlocks: 7
; NumSGPRsForWavesPerEU: 28
; NumVGPRsForWavesPerEU: 64
; AccumOffset: 64
; Occupancy: 8
; WaveLimiterHint : 1
; COMPUTE_PGM_RSRC2:SCRATCH_EN: 0
; COMPUTE_PGM_RSRC2:USER_SGPR: 2
; COMPUTE_PGM_RSRC2:TRAP_HANDLER: 0
; COMPUTE_PGM_RSRC2:TGID_X_EN: 1
; COMPUTE_PGM_RSRC2:TGID_Y_EN: 0
; COMPUTE_PGM_RSRC2:TGID_Z_EN: 0
; COMPUTE_PGM_RSRC2:TIDIG_COMP_CNT: 0
; COMPUTE_PGM_RSRC3_GFX90A:ACCUM_OFFSET: 15
; COMPUTE_PGM_RSRC3_GFX90A:TG_SPLIT: 0
	.text
	.p2alignl 6, 3212836864
	.fill 256, 4, 3212836864
	.type	__hip_cuid_a6811ff323ec0045,@object ; @__hip_cuid_a6811ff323ec0045
	.section	.bss,"aw",@nobits
	.globl	__hip_cuid_a6811ff323ec0045
__hip_cuid_a6811ff323ec0045:
	.byte	0                               ; 0x0
	.size	__hip_cuid_a6811ff323ec0045, 1

	.ident	"AMD clang version 19.0.0git (https://github.com/RadeonOpenCompute/llvm-project roc-6.4.0 25133 c7fe45cf4b819c5991fe208aaa96edf142730f1d)"
	.section	".note.GNU-stack","",@progbits
	.addrsig
	.addrsig_sym __hip_cuid_a6811ff323ec0045
	.amdgpu_metadata
---
amdhsa.kernels:
  - .agpr_count:     0
    .args:
      - .actual_access:  read_only
        .address_space:  global
        .offset:         0
        .size:           8
        .value_kind:     global_buffer
      - .offset:         8
        .size:           8
        .value_kind:     by_value
      - .actual_access:  read_only
        .address_space:  global
        .offset:         16
        .size:           8
        .value_kind:     global_buffer
      - .actual_access:  read_only
        .address_space:  global
        .offset:         24
        .size:           8
        .value_kind:     global_buffer
      - .offset:         32
        .size:           8
        .value_kind:     by_value
      - .actual_access:  read_only
        .address_space:  global
        .offset:         40
        .size:           8
        .value_kind:     global_buffer
      - .actual_access:  read_only
        .address_space:  global
        .offset:         48
        .size:           8
        .value_kind:     global_buffer
      - .offset:         56
        .size:           4
        .value_kind:     by_value
      - .actual_access:  read_only
        .address_space:  global
        .offset:         64
        .size:           8
        .value_kind:     global_buffer
      - .actual_access:  read_only
        .address_space:  global
        .offset:         72
        .size:           8
        .value_kind:     global_buffer
      - .address_space:  global
        .offset:         80
        .size:           8
        .value_kind:     global_buffer
    .group_segment_fixed_size: 0
    .kernarg_segment_align: 8
    .kernarg_segment_size: 88
    .language:       OpenCL C
    .language_version:
      - 2
      - 0
    .max_flat_workgroup_size: 108
    .name:           fft_rtc_back_len270_factors_10_3_3_3_wgs_108_tpt_27_halfLds_sp_ip_CI_unitstride_sbrr_C2R_dirReg
    .private_segment_fixed_size: 0
    .sgpr_count:     28
    .sgpr_spill_count: 0
    .symbol:         fft_rtc_back_len270_factors_10_3_3_3_wgs_108_tpt_27_halfLds_sp_ip_CI_unitstride_sbrr_C2R_dirReg.kd
    .uniform_work_group_size: 1
    .uses_dynamic_stack: false
    .vgpr_count:     64
    .vgpr_spill_count: 0
    .wavefront_size: 64
amdhsa.target:   amdgcn-amd-amdhsa--gfx950
amdhsa.version:
  - 1
  - 2
...

	.end_amdgpu_metadata
